;; amdgpu-corpus repo=ROCm/rocm-libraries kind=harvested arch=n/a opt=n/a

/******************************************/
/* Begin Kernel                           */
/******************************************/
.amdgcn_target "amdgcn-amd-amdhsa--gfx942"
.text
.protected Custom_Cijk_Ailk_Bljk_F8NH_HHS_BH_Bias_AS_SAB_SAV_shortname0_gfx942
.globl Custom_Cijk_Ailk_Bljk_F8NH_HHS_BH_Bias_AS_SAB_SAV_shortname0_gfx942
.p2align 8
.type Custom_Cijk_Ailk_Bljk_F8NH_HHS_BH_Bias_AS_SAB_SAV_shortname0_gfx942,@function
.section .rodata,#alloc
.p2align 6
.amdhsa_kernel Custom_Cijk_Ailk_Bljk_F8NH_HHS_BH_Bias_AS_SAB_SAV_shortname0_gfx942
  .amdhsa_user_sgpr_kernarg_segment_ptr 1
  .amdhsa_accum_offset 128 // accvgpr offset
  .amdhsa_next_free_vgpr 256 // vgprs
  .amdhsa_next_free_sgpr 80 // sgprs
  .amdhsa_group_segment_fixed_size 4096 // lds bytes
  .amdhsa_private_segment_fixed_size 0
  .amdhsa_system_sgpr_workgroup_id_x 1
  .amdhsa_system_sgpr_workgroup_id_y 1
  .amdhsa_system_sgpr_workgroup_id_z 1
  .amdhsa_system_vgpr_workitem_id 0
  .amdhsa_float_denorm_mode_32 3
  .amdhsa_float_denorm_mode_16_64 3
.end_amdhsa_kernel
.text
/* Num VGPR   =96 */
/* Num AccVGPR=32 */
/* Num SGPR   =80 */

/******************************************/
/* Optimizations and Config:              */
/******************************************/
/* ThreadTile= 32 x 1 */
/* SubGroup= 16 x 16 */
/* VectorWidthA=8 */
/* VectorWidthB=1 */
/* GlobalReadVectorWidthA=8, GlobalReadVectorWidthB=2 */
/* DirectToLdsA=False */
/* DirectToLdsB=False */
/* UseSgprForGRO=1 */
.amdgpu_metadata
---
custom.config:
   ProblemType:
      OperationType: GEMM
      DataTypeA: f8n
      DataTypeB: h
      UseScaleAB: "Scalar"
      DataType: h
      DestDataType: h
      ComputeDataType: s
      HighPrecisionAccumulate: True
      TransposeA: False
      TransposeB: False
      UseBeta: True
      Batched: True
      UseBias: 1
      Activation: True
      UseScaleAlphaVec: 1
   1LDSBuffer: 1
   DepthU: 32
   StaggerU: 4
   WorkGroupMapping: 1
   WaveSeparateGlobalReadA: 0
   WaveSeparateGlobalReadB: 0
   GlobalReadVectorWidthA: 8
   GlobalReadVectorWidthB: 2
   AssertFree0ElementMultiple: 8
   AssertSummationElementMultiple: 1
   GlobalSplitU: 16
   GlobalSplitUAlgorithm: MultipleBuffer
   InternalSupportParams: {KernArgsVersion: 0, SupportCustomWGM: True, SupportUserGSU: True, SupportCustomStaggerU: True, UseUniversalArgs: False}
   PreloadKernArgs: 0
   NoReject: 1
amdhsa.version:
  - 1
  - 1
amdhsa.kernels:
  - .name: Custom_Cijk_Ailk_Bljk_F8NH_HHS_BH_Bias_AS_SAB_SAV_shortname0_gfx942
    .symbol: 'Custom_Cijk_Ailk_Bljk_F8NH_HHS_BH_Bias_AS_SAB_SAV_shortname0_gfx942.kd'
    .language:                   OpenCL C
    .language_version:
      - 2
      - 0
    .args:
      - .name:            SizesFree0
        .size:            4
        .offset:          0
        .value_kind:      by_value
        .value_type:      u32
      - .name:            SizesFree1
        .size:            4
        .offset:          4
        .value_kind:      by_value
        .value_type:      u32
      - .name:            SizesFree2
        .size:            4
        .offset:          8
        .value_kind:      by_value
        .value_type:      u32
      - .name:            SizesSum0
        .size:            4
        .offset:          12
        .value_kind:      by_value
        .value_type:      u32
      - .name:            D
        .size:            8
        .offset:          16
        .value_kind:      global_buffer
        .value_type:      f16
        .address_space:   generic
      - .name:            C
        .size:            8
        .offset:          24
        .value_kind:      global_buffer
        .value_type:      f16
        .address_space:   generic
      - .name:            A
        .size:            8
        .offset:          32
        .value_kind:      global_buffer
        .value_type:      f16
        .address_space:   generic
      - .name:            B
        .size:            8
        .offset:          40
        .value_kind:      global_buffer
        .value_type:      f16
        .address_space:   generic
      - .name:            strideD0
        .size:            4
        .offset:          48
        .value_kind:      by_value
        .value_type:      u32
      - .name:            strideD1
        .size:            4
        .offset:          52
        .value_kind:      by_value
        .value_type:      u32
      - .name:            strideC0
        .size:            4
        .offset:          56
        .value_kind:      by_value
        .value_type:      u32
      - .name:            strideC1
        .size:            4
        .offset:          60
        .value_kind:      by_value
        .value_type:      u32
      - .name:            strideA0
        .size:            4
        .offset:          64
        .value_kind:      by_value
        .value_type:      u32
      - .name:            strideA1
        .size:            4
        .offset:          68
        .value_kind:      by_value
        .value_type:      u32
      - .name:            strideB0
        .size:            4
        .offset:          72
        .value_kind:      by_value
        .value_type:      u32
      - .name:            strideB1
        .size:            4
        .offset:          76
        .value_kind:      by_value
        .value_type:      u32
      - .name:            alpha
        .size:            4
        .offset:          80
        .value_kind:      by_value
        .value_type:      f32
      - .name:            beta
        .size:            4
        .offset:          84
        .value_kind:      by_value
        .value_type:      f32
      - .name:            internalArgs
        .size:            4
        .offset:          88
        .value_kind:      by_value
        .value_type:      u32
      - .name:            AddressScaleA
        .size:            8
        .offset:          92
        .value_kind:      global_buffer
        .value_type:      f32
        .address_space:   generic
      - .name:            AddressScaleB
        .size:            8
        .offset:          100
        .value_kind:      global_buffer
        .value_type:      f32
        .address_space:   generic
      - .name:            AddressScaleAlphaVec
        .size:            8
        .offset:          108
        .value_kind:      global_buffer
        .value_type:      f32
        .address_space:   generic
      - .name:            bias
        .size:            8
        .offset:          116
        .value_kind:      global_buffer
        .value_type:      void
        .address_space:   generic
      - .name:            biasType
        .size:            4
        .offset:          124
        .value_kind:      by_value
        .value_type:      u32
      - .name:            StrideBias
        .size:            4
        .offset:          128
        .value_kind:      by_value
        .value_type:      u32
      - .name:            activationAlpha
        .size:            4
        .offset:          132
        .value_kind:      by_value
        .value_type:      f32
      - .name:            activationBeta
        .size:            4
        .offset:          136
        .value_kind:      by_value
        .value_type:      f32
      - .name:            activationType
        .size:            4
        .offset:          140
        .value_kind:      by_value
        .value_type:      u32
    .group_segment_fixed_size:   4096
    .kernarg_segment_align:      8
    .kernarg_segment_size:       144
    .max_flat_workgroup_size:    256
    .private_segment_fixed_size: 0
    .sgpr_count:                 80
    .sgpr_spill_count:           0
    .vgpr_count:                 96
    .vgpr_spill_count:           0
    .wavefront_size:             64
...
.end_amdgpu_metadata
Custom_Cijk_Ailk_Bljk_F8NH_HHS_BH_Bias_AS_SAB_SAV_shortname0_gfx942:
.long 0xC0120600, 0x00000000
.long 0xC00A0A00, 0x00000040
.long 0xC0060B00, 0x00000050
.long 0xC0020B80, 0x00000058
.long 0xBEC100FF, 0x05040100
.long 0xBEC200FF, 0x07060302
.long 0xBEFC00FF, 0x00001000
.long 0x7E920300
.long 0x260292BF
	;; [unrolled: 1-line block ×29, first 2 shown]
.long 0xD2850000, 0x0002004A
.long 0xD1FE0024, 0x02060300
.long 0x20044887
.long 0x24040483
.long 0x68484902
.long 0x20029286
.long 0x260092BF
.long 0x24000083
.long 0x7E080301
.long 0x20049284
.long 0x2606928F
.long 0x24060681
.long 0x7E0A0303
.long 0x104A04A0
.long 0xD1FE0025, 0x02064B05
.long 0x200C4A87
.long 0x240C0C83
.long 0x684A4B06
.long 0xBF8CC07F
.long 0x8609FF2E, 0x0000FF00
.long 0x8F098809
.long 0x862FFF2E, 0xFFFF0000
.long 0x8F2F902F
.long 0x862EFF2E, 0x000000FF
.long 0x7E1002FF, 0x00000200
.long 0x7E0E0218
.long 0x7E0C0D08
	;; [unrolled: 1-line block ×8, first 2 shown]
.long 0xD0CD006A, 0x00010109
.long 0xD11C6A06, 0x01A90106
.long 0x7E100290
.long 0x7E0E0219
	;; [unrolled: 1-line block ×10, first 2 shown]
.long 0xD0CD006A, 0x00010109
.long 0xD11C6A06, 0x01A90106
.long 0xBF800000
.long 0x7E2A0506
	;; [unrolled: 1-line block ×6, first 2 shown]
.long 0xD042006A, 0x0001002C
.long 0xBF860001
.long 0xBE9B0080
	;; [unrolled: 1-line block ×9, first 2 shown]
.long 0xD1080007, 0x00005D06
.long 0x6A0E0E03
.long 0xD0DA007E, 0x00005D07
.long 0x680C0C81
.long 0x7E0E0280
	;; [unrolled: 1-line block ×18, first 2 shown]
.long 0xD1080007, 0x00001306
.long 0x6A0E0E03
.long 0xD0DA007E, 0x00001307
.long 0x680C0C81
.long 0xBEFE01C1
	;; [unrolled: 1-line block ×12, first 2 shown]
.long 0xD1080007, 0x00001306
.long 0x6A0E0E15
.long 0xD0DA007E, 0x00001307
.long 0x680C0C81
.long 0xBEFE01C1
	;; [unrolled: 1-line block ×14, first 2 shown]
.long 0xD1080007, 0x00009506
.long 0x6A0E0E4D
.long 0xD0DA007E, 0x00009507
.long 0x680C0C81
.long 0x7E0E0280
	;; [unrolled: 1-line block ×11, first 2 shown]
.long 0xD2850001, 0x00020284
.long 0xD2850001, 0x00020228
.long 0x68000101
.long 0x20029286
	;; [unrolled: 1-line block ×13, first 2 shown]
.long 0xD2850006, 0x0002042A
.long 0x324E0D03
.long 0x684E4E82
	;; [unrolled: 1-line block ×3, first 2 shown]
.long 0x964DFF02, 0x00000200
.long 0x924CFF02, 0x00000200
.long 0x964B06A0
.long 0x924A06A0
	;; [unrolled: 1-line block ×30, first 2 shown]
.long 0xBEB300FF, 0x00020000
.long 0x964D9003
.long 0x924C9003
	;; [unrolled: 1-line block ×34, first 2 shown]
.long 0xBEB700FF, 0x00020000
.long 0x924AA02E
.long 0x923F284A
	;; [unrolled: 1-line block ×14, first 2 shown]
.long 0xD1080001, 0x00005D00
.long 0x6A02020A
.long 0xD0DA007E, 0x00005D01
.long 0x68000081
.long 0x7E020280
.long 0xBEFE01C1
.long 0x7E140500
.long 0x7E0E0501
.long 0x804A0A81
.long 0xBF0A0706
.long 0xBE8A024A
.long 0xBE8B000A
.long 0x864CFF2F, 0x00001F00
.long 0x8F4C884C
.long 0x864DFF2F, 0x0000E000
.long 0x862FFF2F, 0x000000FF
.long 0xBECA002F
.long 0x8E4B4C4A
	;; [unrolled: 1-line block ×13, first 2 shown]
.long 0xBF06FF4D, 0x00002000
.long 0xBF850002
.long 0xBECA0003
.long 0xBF820011
.long 0xBF06FF4D, 0x00004000
.long 0xBF850002
.long 0xBECA00C1
.long 0xBF82000C
	;; [unrolled: 4-line block ×3, first 2 shown]
.long 0x804A024A
.long 0xBF820005
.long 0xBF06FF4D, 0x00008000
.long 0xBF850002
.long 0xBECA00C1
	;; [unrolled: 1-line block ×32, first 2 shown]
.long 0xE0501000, 0x800D4827
.long 0xE0541000, 0x800C2A26
	;; [unrolled: 1-line block ×9, first 2 shown]
.long 0x804C810A
.long 0xBF064C3A
	;; [unrolled: 1-line block ×22, first 2 shown]
.long 0xBE8E00FF, 0x80000000
.long 0xBE8F00FF, 0x00020000
.long 0xBE90001E
.long 0xBE91001F
.long 0xBE9200FF, 0x80000000
.long 0xBE9300FF, 0x00020000
.long 0x924C0390
.long 0x964B264C
	;; [unrolled: 1-line block ×40, first 2 shown]
.long 0xD3D94000, 0x18000080
.long 0xD3D94001, 0x18000080
.long 0xD3D94002, 0x18000080
.long 0xD3D94003, 0x18000080
.long 0xD3D94004, 0x18000080
.long 0xD3D94005, 0x18000080
.long 0xD3D94006, 0x18000080
.long 0xD3D94007, 0x18000080
.long 0xD3D94008, 0x18000080
.long 0xD3D94009, 0x18000080
.long 0xD3D9400A, 0x18000080
.long 0xD3D9400B, 0x18000080
.long 0xD3D9400C, 0x18000080
.long 0xD3D9400D, 0x18000080
.long 0xD3D9400E, 0x18000080
.long 0xD3D9400F, 0x18000080
.long 0xD3D94010, 0x18000080
.long 0xD3D94011, 0x18000080
.long 0xD3D94012, 0x18000080
.long 0xD3D94013, 0x18000080
.long 0xD3D94014, 0x18000080
.long 0xD3D94015, 0x18000080
.long 0xD3D94016, 0x18000080
.long 0xD3D94017, 0x18000080
.long 0xD3D94018, 0x18000080
.long 0xD3D94019, 0x18000080
.long 0xD3D9401A, 0x18000080
.long 0xD3D9401B, 0x18000080
.long 0xD3D9401C, 0x18000080
.long 0xD3D9401D, 0x18000080
.long 0xD3D9401E, 0x18000080
.long 0xD3D9401F, 0x18000080
.long 0xBF06800A
.long 0xBF840006
	;; [unrolled: 1-line block ×3, first 2 shown]
.long 0x814C84FF, 0x00000D20
.long 0x804A4C4A
.long 0x824B804B
	;; [unrolled: 1-line block ×12, first 2 shown]
.long 0xD81A0000, 0x00004825
.long 0x2A4A4AFF, 0x00000800
.long 0xBF06810A
.long 0xBF850012
.long 0xE0501000, 0x800D4827
.long 0xE0541000, 0x800C2A26
	;; [unrolled: 1-line block ×9, first 2 shown]
.long 0xBF8CC07F
.long 0xBF8A0000
.long 0x7EB4ACF9, 0x0004064A
.long 0x7E0014F9, 0x0006145A
	;; [unrolled: 1-line block ×49, first 2 shown]
.long 0xBF06810A
.long 0xBF850237
	;; [unrolled: 1-line block ×5, first 2 shown]
.long 0xD3CD8000, 0x04020120
.long 0xBF063A0A
.long 0x854A3F3B
	;; [unrolled: 1-line block ×18, first 2 shown]
.long 0xD3CD8004, 0x04120520
.long 0xBF8C0F78
.long 0xD81A0000, 0x00004825
.long 0xE0501000, 0x800D4827
	;; [unrolled: 1-line block ×9, first 2 shown]
.long 0xBF8C0F78
.long 0x7E94712A
.long 0xE0541000, 0x800C2A26
.long 0x7EB4ACF9, 0x00040653
	;; [unrolled: 1-line block ×8, first 2 shown]
.long 0xBF8C0F78
.long 0x7E98712E
.long 0xE0541000, 0x430C2E26
.long 0x7EB4ACF9, 0x00040654
	;; [unrolled: 1-line block ×7, first 2 shown]
.long 0xBF8C0F78
.long 0x7E9C7132
.long 0xE0541000, 0x440C3226
.long 0xD3CD8010, 0x04421120
.long 0xBF8C0F78
.long 0x7EA07136
.long 0xE0541000, 0x450C3626
.long 0x7EB4ACF9, 0x00040655
	;; [unrolled: 1-line block ×9, first 2 shown]
.long 0xBF8C0F78
.long 0x7EA4713A
.long 0xE0541000, 0x460C3A26
.long 0x7EB4ACF9, 0x00040656
	;; [unrolled: 1-line block ×8, first 2 shown]
.long 0xBF8C0F78
.long 0x7EA8713E
.long 0xE0541000, 0x470C3E26
.long 0x7EB4ACF9, 0x00040657
	;; [unrolled: 1-line block ×20, first 2 shown]
.long 0xBF8C0F78
.long 0x7EAC7142
.long 0xE0541000, 0x480C4226
.long 0x7EB4ACF9, 0x0004064A
	;; [unrolled: 1-line block ×14, first 2 shown]
.long 0xBF8C0F78
.long 0x7EB07146
.long 0xE0541000, 0x490C4626
.long 0x7EB4ACF9, 0x0004064C
	;; [unrolled: 1-line block ×10, first 2 shown]
.long 0xBF8CC07F
.long 0xBF8A0000
.long 0xD8EC0000, 0x20000024
.long 0xD3CD8008, 0x04222922
	;; [unrolled: 1-line block ×37, first 2 shown]
.long 0x808A810A
.long 0xBF00820A
	;; [unrolled: 1-line block ×4, first 2 shown]
.long 0xD3CD8000, 0x04020120
.long 0x7EB4ACF9, 0x00040652
	;; [unrolled: 1-line block ×49, first 2 shown]
.long 0xBF063A0A
.long 0xD3CD8004, 0x04120520
.long 0x854A3F3B
.long 0xD3CD8008, 0x04220920
	;; [unrolled: 2-line block ×4, first 2 shown]
.long 0xD8EC0020, 0x22000024
.long 0x82314B31
.long 0x80964A16
	;; [unrolled: 1-line block ×15, first 2 shown]
.long 0xD81A0000, 0x00004825
.long 0xBF8C0F77
.long 0x7E94712A
	;; [unrolled: 1-line block ×16, first 2 shown]
.long 0x2A4A4AFF, 0x00000800
.long 0xD3CD8014, 0x04521520
	;; [unrolled: 1-line block ×5, first 2 shown]
.long 0xBF8CC07F
.long 0xBF8A0000
.long 0xD3CD8000, 0x04022122
.long 0xD3CD8004, 0x04122522
	;; [unrolled: 1-line block ×57, first 2 shown]
.long 0xBF06812E
.long 0xBF840000
	;; [unrolled: 1-line block ×3, first 2 shown]
.long 0xD3CD8000, 0x04020120
.long 0x7EB4ACF9, 0x00040652
.long 0x7E2014F9, 0x0006145A
.long 0x7E2414F9, 0x0006145B
.long 0x7EB4ACF9, 0x00050652
.long 0x7E2814F9, 0x0006145A
.long 0x7E2C14F9, 0x0006145B
.long 0x7EB4ACF9, 0x00040653
.long 0x7E3014F9, 0x0006145A
.long 0x7E3414F9, 0x0006145B
.long 0x7EB4ACF9, 0x00050653
.long 0x7E3814F9, 0x0006145A
.long 0x7E3C14F9, 0x0006145B
.long 0x7EB4ACF9, 0x00040654
.long 0x7E2014F9, 0x0006155A
.long 0x7E2414F9, 0x0006155B
.long 0x7EB4ACF9, 0x00050654
.long 0x7E2814F9, 0x0006155A
.long 0x7E2C14F9, 0x0006155B
.long 0x7EB4ACF9, 0x00040655
.long 0x7E3014F9, 0x0006155A
.long 0x7E3414F9, 0x0006155B
.long 0x7EB4ACF9, 0x00050655
.long 0x7E3814F9, 0x0006155A
.long 0x7E3C14F9, 0x0006155B
.long 0x7EB4ACF9, 0x00040656
.long 0x7E2214F9, 0x0006145A
.long 0x7E2614F9, 0x0006145B
.long 0x7EB4ACF9, 0x00050656
.long 0x7E2A14F9, 0x0006145A
.long 0x7E2E14F9, 0x0006145B
.long 0x7EB4ACF9, 0x00040657
.long 0x7E3214F9, 0x0006145A
.long 0x7E3614F9, 0x0006145B
.long 0x7EB4ACF9, 0x00050657
.long 0x7E3A14F9, 0x0006145A
.long 0x7E3E14F9, 0x0006145B
.long 0x7EB4ACF9, 0x00040658
.long 0x7E2214F9, 0x0006155A
.long 0x7E2614F9, 0x0006155B
.long 0x7EB4ACF9, 0x00050658
.long 0x7E2A14F9, 0x0006155A
.long 0x7E2E14F9, 0x0006155B
.long 0x7EB4ACF9, 0x00040659
.long 0x7E3214F9, 0x0006155A
.long 0x7E3614F9, 0x0006155B
.long 0x7EB4ACF9, 0x00050659
.long 0x7E3A14F9, 0x0006155A
.long 0x7E3E14F9, 0x0006155B
.long 0xD3CD8004, 0x04120520
.long 0xD3CD8008, 0x04220920
.long 0xD3CD800C, 0x04320D20
.long 0xD3CD8010, 0x04421120
.long 0xD8EC0020, 0x22000024
.long 0xD3CD8014, 0x04521520
.long 0xD3CD8018, 0x04621920
.long 0xD3CD801C, 0x04721D20
.long 0xBF8CC07F
.long 0xD3CD8000, 0x04022122
.long 0xD3CD8004, 0x04122522
	;; [unrolled: 1-line block ×9, first 2 shown]
.long 0x860A1B9F
.long 0xBF070706
	;; [unrolled: 1-line block ×28, first 2 shown]
.long 0xE0801000, 0x800C2A26
.long 0xE0801001, 0x800C0026
.long 0xE0841002, 0x800C0126
.long 0xE0841003, 0x800C0226
.long 0xE0801004, 0x800C2B26
.long 0xE0801005, 0x800C0426
.long 0xE0841006, 0x800C0526
.long 0xE0841007, 0x800C0626
.long 0xBF8C0F76
.long 0x24000088
.long 0x2854012A
.long 0xBF8C0F75
.long 0x2854032A
.long 0xBF8C0F74
.long 0x24040488
.long 0x2854052A
.long 0xBF8C0F72
.long 0x24080888
.long 0x2856092B
.long 0xBF8C0F71
.long 0x28560B2B
.long 0xBF8C0F70
.long 0x240C0C88
.long 0x28560D2B
.long 0xE0801000, 0x430C2E26
.long 0xE0801001, 0x430C0026
.long 0xE0841002, 0x430C0126
.long 0xE0841003, 0x430C0226
.long 0xE0801004, 0x430C2F26
.long 0xE0801005, 0x430C0426
.long 0xE0841006, 0x430C0526
.long 0xE0841007, 0x430C0626
.long 0xBF8C0F76
.long 0x24000088
.long 0x285C012E
.long 0xBF8C0F75
.long 0x285C032E
.long 0xBF8C0F74
.long 0x24040488
.long 0x285C052E
.long 0xBF8C0F72
.long 0x24080888
.long 0x285E092F
.long 0xBF8C0F71
.long 0x285E0B2F
.long 0xBF8C0F70
.long 0x240C0C88
.long 0x285E0D2F
	;; [unrolled: 24-line block ×8, first 2 shown]
.long 0xE0901000, 0x800D4827
.long 0xE0941002, 0x800D0027
.long 0xBF8C0F70
.long 0x28900148
	;; [unrolled: 1-line block ×12, first 2 shown]
.long 0xD81A0000, 0x00004825
.long 0xBF8CC07F
.long 0xBF8A0000
.long 0x264848FF, 0x000007FF
.long 0x7EB4ACF9, 0x0004064A
	;; [unrolled: 1-line block ×49, first 2 shown]
.long 0x7E947152
.long 0x7E987154
	;; [unrolled: 1-line block ×4, first 2 shown]
.long 0xD8EC0000, 0x20000024
.long 0xBE8500A0
.long 0x32484805
	;; [unrolled: 1-line block ×6, first 2 shown]
.long 0xD0C6004A, 0x00001534
.long 0xD1000000, 0x01290100
	;; [unrolled: 1-line block ×19, first 2 shown]
.long 0x6A68680A
.long 0xD0C1004A, 0x00010934
.long 0x864C830A
.long 0x80CC4C84
	;; [unrolled: 1-line block ×3, first 2 shown]
.long 0xD28F0036, 0x0002004C
.long 0xD1000000, 0x012A6D00
	;; [unrolled: 1-line block ×27, first 2 shown]
.long 0xBF800001
.long 0xD3CD8000, 0x04020120
.long 0xD3CD8004, 0x04120520
	;; [unrolled: 1-line block ×8, first 2 shown]
.long 0x818A900A
.long 0x800B900B
	;; [unrolled: 1-line block ×6, first 2 shown]
.long 0xC00E0C00, 0x0000005C
.long 0xC00A0E00, 0x0000007C
	;; [unrolled: 1-line block ×3, first 2 shown]
.long 0x20089286
.long 0x200A0882
.long 0xD2850005, 0x00020A90
.long 0x260292BF
.long 0x20020284
	;; [unrolled: 1-line block ×3, first 2 shown]
.long 0xD1FE0001, 0x02020305
.long 0xD2850002, 0x00004D01
	;; [unrolled: 1-line block ×3, first 2 shown]
.long 0x26000883
.long 0xD2850000, 0x00020090
.long 0x260A928F
.long 0xD1FE0000, 0x020E0105
.long 0x920502FF, 0x00000200
.long 0x68000005
.long 0x92050390
	;; [unrolled: 1-line block ×6, first 2 shown]
.long 0x864818FF, 0x000001FF
.long 0x804914C1
.long 0xBF094902
	;; [unrolled: 1-line block ×11, first 2 shown]
.long 0xD1FE0006, 0x020A0103
.long 0xD3D84008, 0x18000100
	;; [unrolled: 1-line block ×33, first 2 shown]
.long 0xBF800001
.long 0xE07C1000, 0x80030806
.long 0xE07C1010, 0x80030C06
.long 0x8E3E8224
.long 0x800C3E0C
.long 0x820D800D
.long 0xE07C1000, 0x80031006
.long 0xE07C1010, 0x80031406
.long 0x8E3E8224
.long 0x800C3E0C
	;; [unrolled: 5-line block ×4, first 2 shown]
.long 0x7E3402FF, 0x80000000
.long 0xD0C90048, 0x00003100
.long 0xD0C9004C, 0x00003301
.long 0x86CC4C48
.long 0xD1FE0006, 0x020A0103
.long 0xD1000006, 0x01320D1A
.long 0xD1196A01, 0x00010301
.long 0xD1340002, 0x00004D02
.long 0xD1340003, 0x00004903
.long 0xD0C90048, 0x00003100
.long 0xD0C9004C, 0x00003301
.long 0x86CC4C48
.long 0xD1FE0007, 0x020A0103
.long 0xD1000007, 0x01320F1A
.long 0xD1196A01, 0x00010301
.long 0xD1340002, 0x00004D02
	;; [unrolled: 8-line block ×4, first 2 shown]
.long 0xD3D8400A, 0x18000108
.long 0xD3D8400B, 0x1800010C
	;; [unrolled: 1-line block ×30, first 2 shown]
.long 0xBF800001
.long 0xE07C1000, 0x80030806
.long 0xE07C1010, 0x80030C06
	;; [unrolled: 1-line block ×8, first 2 shown]
.long 0xBF800000
.long 0xBF820000
	;; [unrolled: 1-line block ×3, first 2 shown]
.long 0x814A84FF, 0x0000299C
.long 0x80484A48
.long 0x82498049
	;; [unrolled: 1-line block ×6, first 2 shown]
.long 0xC0020158, 0x00000000
.long 0xBEAF00F2
.long 0xBF128032
	;; [unrolled: 1-line block ×3, first 2 shown]
.long 0xC0020BD9, 0x00000000
.long 0xBEC00034
.long 0xBEC10035
.long 0xBEC300FF, 0x00020000
.long 0xBF128034
.long 0xBF840002
	;; [unrolled: 1-line block ×12, first 2 shown]
.long 0xBEC700FF, 0x00020000
.long 0xBF128036
.long 0xBF840002
	;; [unrolled: 1-line block ×8, first 2 shown]
.long 0x923D02FF, 0x00000200
.long 0x6810923D
.long 0x923D0439
	;; [unrolled: 1-line block ×4, first 2 shown]
.long 0xE0501000, 0x80110408
.long 0x681010FF, 0x00000400
	;; [unrolled: 1-line block ×3, first 2 shown]
.long 0x24109282
.long 0xBF8C0F71
	;; [unrolled: 1-line block ×3, first 2 shown]
.long 0xD81A0000, 0x00000408
.long 0x681010FF, 0x00000400
.long 0xBF8C0F70
.long 0xD81A0000, 0x00000508
.long 0xBF82001C
.long 0xB4B80004
	;; [unrolled: 1-line block ×4, first 2 shown]
.long 0x923D02FF, 0x00000200
.long 0x6810923D
.long 0x923D0439
	;; [unrolled: 1-line block ×4, first 2 shown]
.long 0xE0901000, 0x80110408
.long 0x681010FF, 0x00000200
	;; [unrolled: 1-line block ×3, first 2 shown]
.long 0x24109282
.long 0xBF8C0F71
	;; [unrolled: 1-line block ×4, first 2 shown]
.long 0xD81A0000, 0x00000408
.long 0x681010FF, 0x00000400
.long 0xBF8C0F70
.long 0x7E0A1705
.long 0xD81A0000, 0x00000508
.long 0xBF820000
.long 0x7E08022C
	;; [unrolled: 1-line block ×3, first 2 shown]
.long 0xD1050004, 0x00000B04
.long 0xD1050004, 0x00005F04
.long 0xBF800000
.long 0x7E580504
.long 0xB43C0001
.long 0xBF850014
.long 0xB43C0002
.long 0xBF850018
.long 0xB43C0003
.long 0xBF85001C
.long 0xB43C0004
.long 0xBF850020
.long 0xB43C0005
.long 0xBF850024
.long 0xB43C0006
.long 0xBF850028
.long 0xB43C0007
.long 0xBF85002C
.long 0xB43C0009
.long 0xBF850030
.long 0xBEBE1C00
.long 0x810584FF, 0x00001FC4
.long 0x803E053E
.long 0x823F803F
.long 0xBF820030
.long 0xBEBE1C00
.long 0x810584FF, 0x00001FB0
.long 0x803E053E
.long 0x823F803F
.long 0xBF82002A
.long 0xBEBE1C00
	;; [unrolled: 5-line block ×9, first 2 shown]
.long 0xBF840387
.long 0x864A18FF, 0x000001FF
.long 0x804B14C1
.long 0xBF094B02
	;; [unrolled: 1-line block ×11, first 2 shown]
.long 0x924A02FF, 0x00000200
.long 0xD135000F, 0x00009500
.long 0x241E1E82
.long 0xBF8CC07F
	;; [unrolled: 1-line block ×3, first 2 shown]
.long 0xD9FE0000, 0x1800000F
.long 0xD9FE0010, 0x1C00000F
.long 0x24200082
.long 0xE05C1000, 0x80102010
.long 0xE05C1010, 0x80102410
	;; [unrolled: 1-line block ×19, first 2 shown]
.long 0xBF800001
.long 0x0A50502C
	;; [unrolled: 1-line block ×18, first 2 shown]
.long 0xD0CC0034, 0x00010042
.long 0xD1000020, 0x00D240F2
	;; [unrolled: 1-line block ×20, first 2 shown]
.long 0xBEC81E3E
.long 0x7E500304
	;; [unrolled: 1-line block ×11, first 2 shown]
.long 0xD2A00028, 0x00025328
.long 0x7E54152A
.long 0x7E56152B
.long 0xD2A00029, 0x0002572A
.long 0x7E58152C
.long 0x7E5A152D
	;; [unrolled: 3-line block ×3, first 2 shown]
.long 0xD2A0002B, 0x00025F2E
.long 0xE07C1000, 0x8003280D
	;; [unrolled: 1-line block ×22, first 2 shown]
.long 0xBEC81E3E
.long 0x7E600304
	;; [unrolled: 1-line block ×11, first 2 shown]
.long 0xD2A00030, 0x00026330
.long 0x7E641532
.long 0x7E661533
.long 0xD2A00031, 0x00026732
.long 0x7E681534
.long 0x7E6A1535
	;; [unrolled: 3-line block ×4, first 2 shown]
.long 0x820D800D
.long 0xE07C1000, 0x8003300D
.long 0xBF800000
.long 0x924A02FF, 0x00000200
.long 0xD135000F, 0x00009500
.long 0x241E1E82
.long 0xD9FE0000, 0x1800000F
.long 0xD9FE0010, 0x1C00000F
	;; [unrolled: 1-line block ×20, first 2 shown]
.long 0xBF800001
.long 0x0A50502C
	;; [unrolled: 1-line block ×18, first 2 shown]
.long 0xD0CC0034, 0x00010042
.long 0xD1000020, 0x00D240F2
	;; [unrolled: 1-line block ×20, first 2 shown]
.long 0xBEC81E3E
.long 0x7E500304
.long 0x7E520305
.long 0x7E540306
.long 0x7E560307
.long 0x7E580308
.long 0x7E5A0309
.long 0x7E5C030A
.long 0x7E5E030B
.long 0x7E501528
.long 0x7E521529
.long 0xD2A00028, 0x00025328
.long 0x7E54152A
.long 0x7E56152B
.long 0xD2A00029, 0x0002572A
.long 0x7E58152C
.long 0x7E5A152D
	;; [unrolled: 3-line block ×4, first 2 shown]
.long 0x820D800D
.long 0xE07C1000, 0x8003280D
.long 0xD0CC0034, 0x00010042
	;; [unrolled: 1-line block ×21, first 2 shown]
.long 0xBEC81E3E
.long 0x7E600304
	;; [unrolled: 1-line block ×11, first 2 shown]
.long 0xD2A00030, 0x00026330
.long 0x7E641532
.long 0x7E661533
.long 0xD2A00031, 0x00026732
.long 0x7E681534
.long 0x7E6A1535
	;; [unrolled: 3-line block ×4, first 2 shown]
.long 0x820D800D
.long 0xE07C1000, 0x8003300D
.long 0xBF800000
.long 0xBF820814
.long 0x7E5602FF, 0x80000000
.long 0xD0C9004A, 0x00003100
	;; [unrolled: 1-line block ×3, first 2 shown]
.long 0x86CE4E4A
.long 0x924A02FF, 0x00000200
.long 0xD135000E, 0x00009500
.long 0x241C1C82
.long 0xD100000E, 0x013A1D2B
.long 0xBF8CC07F
.long 0xBF8A0000
.long 0xD9FE0000, 0x1000000E
.long 0xD9FE0010, 0x1400000E
.long 0x241E0082
.long 0xE05C1000, 0x8010180F
.long 0xE05C1010, 0x80101C0F
.long 0xD1FE000D, 0x02060103
.long 0xD100000D, 0x013A1B2B
.long 0xD1196A01, 0x00010301
.long 0xD1340002, 0x00004D02
.long 0xD1340003, 0x00004903
.long 0xD0C9004A, 0x00003100
.long 0xD0C9004E, 0x00003301
.long 0x86CE4E4A
.long 0x924A02FF, 0x00000200
.long 0xD1350029, 0x00009500
.long 0x24525282
.long 0xD1000029, 0x013A532B
.long 0x24540082
.long 0xD1FE0028, 0x02060103
.long 0xD1000028, 0x013A512B
	;; [unrolled: 1-line block ×18, first 2 shown]
.long 0xBF800001
.long 0x0A40402C
	;; [unrolled: 1-line block ×18, first 2 shown]
.long 0xD0CC0034, 0x00010042
.long 0xD1000018, 0x00D230F2
	;; [unrolled: 1-line block ×20, first 2 shown]
.long 0xBEC81E3E
.long 0x7E400304
	;; [unrolled: 1-line block ×11, first 2 shown]
.long 0xD2A00020, 0x00024320
.long 0x7E441522
.long 0x7E461523
.long 0xD2A00021, 0x00024722
.long 0x7E481524
.long 0x7E4A1525
	;; [unrolled: 3-line block ×3, first 2 shown]
.long 0xD2A00023, 0x00024F26
.long 0xE07C1000, 0x8003200D
	;; [unrolled: 1-line block ×22, first 2 shown]
.long 0xBEC81E3E
.long 0x7E600304
	;; [unrolled: 1-line block ×11, first 2 shown]
.long 0xD2A00030, 0x00026330
.long 0x7E641532
.long 0x7E661533
.long 0xD2A00031, 0x00026732
.long 0x7E681534
.long 0x7E6A1535
	;; [unrolled: 3-line block ×3, first 2 shown]
.long 0xD2A00033, 0x00026F36
.long 0xE07C1000, 0x80033028
.long 0xBF800000
.long 0x7E5602FF, 0x80000000
.long 0xD1196A01, 0x00010301
	;; [unrolled: 1-line block ×6, first 2 shown]
.long 0x86CE4E4A
.long 0x924A02FF, 0x00000200
.long 0xD135000E, 0x00009500
.long 0x241C1C82
.long 0xD100000E, 0x013A1D2B
.long 0xD9FE0000, 0x1000000E
	;; [unrolled: 1-line block ×3, first 2 shown]
.long 0x241E0082
.long 0xE05C1000, 0x8010180F
.long 0xE05C1010, 0x80101C0F
	;; [unrolled: 1-line block ×9, first 2 shown]
.long 0x86CE4E4A
.long 0x924A02FF, 0x00000200
.long 0xD1350029, 0x00009500
.long 0x24525282
.long 0xD1000029, 0x013A532B
.long 0x24540082
.long 0xD1FE0028, 0x02060103
.long 0xD1000028, 0x013A512B
	;; [unrolled: 1-line block ×18, first 2 shown]
.long 0xBF800001
.long 0x0A40402C
	;; [unrolled: 1-line block ×18, first 2 shown]
.long 0xD0CC0034, 0x00010042
.long 0xD1000018, 0x00D230F2
	;; [unrolled: 1-line block ×20, first 2 shown]
.long 0xBEC81E3E
.long 0x7E400304
	;; [unrolled: 1-line block ×11, first 2 shown]
.long 0xD2A00020, 0x00024320
.long 0x7E441522
.long 0x7E461523
.long 0xD2A00021, 0x00024722
.long 0x7E481524
.long 0x7E4A1525
	;; [unrolled: 3-line block ×3, first 2 shown]
.long 0xD2A00023, 0x00024F26
.long 0xE07C1000, 0x8003200D
	;; [unrolled: 1-line block ×22, first 2 shown]
.long 0xBEC81E3E
.long 0x7E600304
	;; [unrolled: 1-line block ×11, first 2 shown]
.long 0xD2A00030, 0x00026330
.long 0x7E641532
.long 0x7E661533
.long 0xD2A00031, 0x00026732
.long 0x7E681534
.long 0x7E6A1535
	;; [unrolled: 3-line block ×3, first 2 shown]
.long 0xD2A00033, 0x00026F36
.long 0xE07C1000, 0x80033028
.long 0xBF800000
.long 0xBF820635
.long 0x864A18FF, 0x000001FF
.long 0x804B14C1
.long 0xBF094B02
	;; [unrolled: 1-line block ×11, first 2 shown]
.long 0xD1FE000E, 0x02060102
.long 0xE05C1000, 0x8004140E
	;; [unrolled: 1-line block ×4, first 2 shown]
.long 0x241E1E82
.long 0xBF8CC07F
.long 0xBF8A0000
.long 0xD9FE0000, 0x1800000F
.long 0xD9FE0010, 0x1C00000F
.long 0x24200082
.long 0xE05C1000, 0x80102010
.long 0xE05C1010, 0x80102410
.long 0x8E4A8126
.long 0x80104A10
	;; [unrolled: 1-line block ×3, first 2 shown]
.long 0xE05C1000, 0x8004300E
.long 0xD1FE000D, 0x02060103
.long 0xD3D84028, 0x18000100
.long 0xD3D84029, 0x18000104
.long 0xD3D8402A, 0x18000108
.long 0xD3D8402B, 0x1800010C
.long 0xD3D8402C, 0x18000110
.long 0xD3D8402D, 0x18000114
.long 0xD3D8402E, 0x18000118
.long 0xD3D8402F, 0x1800011C
.long 0xD3D84038, 0x18000101
.long 0xD3D84039, 0x18000105
.long 0xD3D8403A, 0x18000109
.long 0xD3D8403B, 0x1800010D
.long 0xD3D8403C, 0x18000111
.long 0xD3D8403D, 0x18000115
.long 0xD3D8403E, 0x18000119
.long 0xD3D8403F, 0x1800011D
.long 0xBF800001
.long 0x0A50502C
	;; [unrolled: 1-line block ×18, first 2 shown]
.long 0xD0CC0034, 0x00010042
.long 0xD1000020, 0x00D240F2
	;; [unrolled: 1-line block ×28, first 2 shown]
.long 0xBEC81E3E
.long 0x7E500304
	;; [unrolled: 1-line block ×11, first 2 shown]
.long 0xD2A00028, 0x00025328
.long 0x7E54152A
.long 0x7E56152B
.long 0xD2A00029, 0x0002572A
.long 0x7E58152C
.long 0x7E5A152D
	;; [unrolled: 3-line block ×3, first 2 shown]
.long 0xD2A0002B, 0x00025F2E
.long 0xE07C1000, 0x8003280D
.long 0xBF8C0F71
.long 0xD0CC0034, 0x00010042
.long 0xD1000020, 0x00D240F2
	;; [unrolled: 1-line block ×28, first 2 shown]
.long 0xBEC81E3E
.long 0x7E700304
	;; [unrolled: 1-line block ×11, first 2 shown]
.long 0xD2A00038, 0x00027338
.long 0x7E74153A
.long 0x7E76153B
.long 0xD2A00039, 0x0002773A
.long 0x7E78153C
.long 0x7E7A153D
	;; [unrolled: 3-line block ×4, first 2 shown]
.long 0x820D800D
.long 0xE07C1000, 0x8003380D
.long 0xBF800000
.long 0x8E4A8126
	;; [unrolled: 1-line block ×4, first 2 shown]
.long 0xE05C1000, 0x8004140E
.long 0x924A02FF, 0x00000200
	;; [unrolled: 1-line block ×3, first 2 shown]
.long 0x241E1E82
.long 0xD9FE0000, 0x1800000F
.long 0xD9FE0010, 0x1C00000F
.long 0xE05C1000, 0x80102010
.long 0xE05C1010, 0x80102410
.long 0x8E4A8126
.long 0x80104A10
	;; [unrolled: 1-line block ×3, first 2 shown]
.long 0xE05C1000, 0x8004300E
.long 0xD3D84028, 0x18000102
	;; [unrolled: 1-line block ×17, first 2 shown]
.long 0xBF800001
.long 0x0A50502C
.long 0x0A52522C
.long 0x0A54542C
.long 0x0A56562C
.long 0x0A58582C
.long 0x0A5A5A2C
.long 0x0A5C5C2C
.long 0x0A5E5E2C
.long 0x0A70702C
.long 0x0A72722C
.long 0x0A74742C
.long 0x0A76762C
.long 0x0A78782C
.long 0x0A7A7A2C
.long 0x0A7C7C2C
.long 0x0A7E7E2C
.long 0xBF8C0071
.long 0xD0CC0034, 0x00010042
.long 0xD1000020, 0x00D240F2
	;; [unrolled: 1-line block ×28, first 2 shown]
.long 0xBEC81E3E
.long 0x7E500304
	;; [unrolled: 1-line block ×11, first 2 shown]
.long 0xD2A00028, 0x00025328
.long 0x7E54152A
.long 0x7E56152B
.long 0xD2A00029, 0x0002572A
.long 0x7E58152C
.long 0x7E5A152D
	;; [unrolled: 3-line block ×4, first 2 shown]
.long 0x820D800D
.long 0xE07C1000, 0x8003280D
.long 0xBF8C0F71
.long 0xD0CC0034, 0x00010042
.long 0xD1000020, 0x00D240F2
	;; [unrolled: 1-line block ×28, first 2 shown]
.long 0xBEC81E3E
.long 0x7E700304
	;; [unrolled: 1-line block ×11, first 2 shown]
.long 0xD2A00038, 0x00027338
.long 0x7E74153A
.long 0x7E76153B
.long 0xD2A00039, 0x0002773A
.long 0x7E78153C
.long 0x7E7A153D
	;; [unrolled: 3-line block ×4, first 2 shown]
.long 0x820D800D
.long 0xE07C1000, 0x8003380D
.long 0xBF800000
.long 0xBF820438
.long 0x7E2E02FF, 0x80000000
.long 0xD0C9004A, 0x00003100
	;; [unrolled: 1-line block ×3, first 2 shown]
.long 0x86CE4E4A
.long 0xD1FE000D, 0x02060102
.long 0xD100000D, 0x013A1B17
	;; [unrolled: 1-line block ×5, first 2 shown]
.long 0x241C1C82
.long 0xD100000E, 0x013A1D17
.long 0xBF8CC07F
.long 0xBF8A0000
.long 0xD9FE0000, 0x1800000E
.long 0xD9FE0010, 0x1C00000E
.long 0x241E0082
.long 0xE05C1000, 0x8010200F
.long 0xE05C1010, 0x8010240F
	;; [unrolled: 1-line block ×9, first 2 shown]
.long 0x86CE4E4A
.long 0xD1FE0014, 0x02060102
.long 0xD1000014, 0x013A2917
	;; [unrolled: 1-line block ×5, first 2 shown]
.long 0x242A2A82
.long 0xD1000015, 0x013A2B17
.long 0x242C0082
.long 0xD1FE0014, 0x02060103
.long 0xD1000014, 0x013A2917
	;; [unrolled: 1-line block ×18, first 2 shown]
.long 0xBF800001
.long 0x0A50502C
	;; [unrolled: 1-line block ×18, first 2 shown]
.long 0xD0CC0034, 0x00010042
.long 0xD1000020, 0x00D240F2
	;; [unrolled: 1-line block ×28, first 2 shown]
.long 0xBEC81E3E
.long 0x7E500304
	;; [unrolled: 1-line block ×11, first 2 shown]
.long 0xD2A00028, 0x00025328
.long 0x7E54152A
.long 0x7E56152B
.long 0xD2A00029, 0x0002572A
.long 0x7E58152C
.long 0x7E5A152D
	;; [unrolled: 3-line block ×3, first 2 shown]
.long 0xD2A0002B, 0x00025F2E
.long 0xE07C1000, 0x8003280D
	;; [unrolled: 1-line block ×30, first 2 shown]
.long 0xBEC81E3E
.long 0x7E700304
	;; [unrolled: 1-line block ×11, first 2 shown]
.long 0xD2A00038, 0x00027338
.long 0x7E74153A
.long 0x7E76153B
.long 0xD2A00039, 0x0002773A
.long 0x7E78153C
.long 0x7E7A153D
	;; [unrolled: 3-line block ×3, first 2 shown]
.long 0xD2A0003B, 0x00027F3E
.long 0xE07C1000, 0x80033814
.long 0xBF800000
.long 0x7E2E02FF, 0x80000000
.long 0xD1196A01, 0x00010301
	;; [unrolled: 1-line block ×6, first 2 shown]
.long 0x86CE4E4A
.long 0xD1FE000D, 0x02060102
.long 0xD100000D, 0x013A1B17
	;; [unrolled: 1-line block ×5, first 2 shown]
.long 0x241C1C82
.long 0xD100000E, 0x013A1D17
.long 0xD9FE0000, 0x1800000E
	;; [unrolled: 1-line block ×3, first 2 shown]
.long 0x241E0082
.long 0xE05C1000, 0x8010200F
.long 0xE05C1010, 0x8010240F
	;; [unrolled: 1-line block ×9, first 2 shown]
.long 0x86CE4E4A
.long 0xD1FE0014, 0x02060102
.long 0xD1000014, 0x013A2917
	;; [unrolled: 1-line block ×5, first 2 shown]
.long 0x242A2A82
.long 0xD1000015, 0x013A2B17
.long 0x242C0082
.long 0xD1FE0014, 0x02060103
.long 0xD1000014, 0x013A2917
	;; [unrolled: 1-line block ×18, first 2 shown]
.long 0xBF800001
.long 0x0A50502C
.long 0x0A52522C
.long 0x0A54542C
.long 0x0A56562C
.long 0x0A58582C
.long 0x0A5A5A2C
.long 0x0A5C5C2C
.long 0x0A5E5E2C
.long 0x0A70702C
.long 0x0A72722C
.long 0x0A74742C
.long 0x0A76762C
.long 0x0A78782C
.long 0x0A7A7A2C
.long 0x0A7C7C2C
.long 0x0A7E7E2C
.long 0xBF8C0000
.long 0xD0CC0034, 0x00010042
.long 0xD1000020, 0x00D240F2
	;; [unrolled: 1-line block ×28, first 2 shown]
.long 0xBEC81E3E
.long 0x7E500304
	;; [unrolled: 1-line block ×11, first 2 shown]
.long 0xD2A00028, 0x00025328
.long 0x7E54152A
.long 0x7E56152B
.long 0xD2A00029, 0x0002572A
.long 0x7E58152C
.long 0x7E5A152D
	;; [unrolled: 3-line block ×3, first 2 shown]
.long 0xD2A0002B, 0x00025F2E
.long 0xE07C1000, 0x8003280D
	;; [unrolled: 1-line block ×30, first 2 shown]
.long 0xBEC81E3E
.long 0x7E700304
.long 0x7E720305
.long 0x7E740306
.long 0x7E760307
.long 0x7E780308
.long 0x7E7A0309
.long 0x7E7C030A
.long 0x7E7E030B
.long 0x7E701538
.long 0x7E721539
.long 0xD2A00038, 0x00027338
.long 0x7E74153A
.long 0x7E76153B
.long 0xD2A00039, 0x0002773A
.long 0x7E78153C
.long 0x7E7A153D
	;; [unrolled: 3-line block ×3, first 2 shown]
.long 0xD2A0003B, 0x00027F3E
.long 0xE07C1000, 0x80033814
.long 0xBF800000
.long 0xBF820201
	;; [unrolled: 1-line block ×3, first 2 shown]
.long 0x260808FF, 0x7FFFFFFF
.long 0x260A0AFF, 0x7FFFFFFF
.long 0x260C0CFF, 0x7FFFFFFF
.long 0x260E0EFF, 0x7FFFFFFF
.long 0x261010FF, 0x7FFFFFFF
.long 0x261212FF, 0x7FFFFFFF
.long 0x261414FF, 0x7FFFFFFF
.long 0x261616FF, 0x7FFFFFFF
.long 0xBE801D48
.long 0xD044006A, 0x00007504
.long 0x1408083B
.long 0x00080880
.long 0xD044006A, 0x00007505
.long 0x140A0A3B
	;; [unrolled: 3-line block ×8, first 2 shown]
.long 0x00161680
.long 0xBE801D48
.long 0x0A1808FF, 0x3D372713
.long 0xD1CB000C, 0x03CA1904
.long 0x0A181904
.long 0x0A1818FF, 0x40135761
.long 0x7E18410C
.long 0xBF800000
.long 0x021818F2
.long 0x7E18450C
.long 0xBF800000
.long 0xD1CB000C, 0x03D218F5
.long 0x0A181904
.long 0x0A0818F0
.long 0x0A180AFF, 0x3D372713
.long 0xD1CB000C, 0x03CA1905
.long 0x0A181905
.long 0x0A1818FF, 0x40135761
.long 0x7E18410C
.long 0xBF800000
.long 0x021818F2
.long 0x7E18450C
.long 0xBF800000
.long 0xD1CB000C, 0x03D218F5
	;; [unrolled: 12-line block ×8, first 2 shown]
.long 0x0A18190B
.long 0x0A1618F0
	;; [unrolled: 1-line block ×4, first 2 shown]
.long 0xD046006A, 0x00010104
.long 0x0008090C
.long 0x0A180A3A
.long 0xD046006A, 0x00010105
.long 0x000A0B0C
.long 0x0A180C3A
	;; [unrolled: 3-line block ×8, first 2 shown]
.long 0xD10B0004, 0x00010104
.long 0xD10B0005, 0x00010105
	;; [unrolled: 1-line block ×8, first 2 shown]
.long 0xBE801D48
.long 0x0A0808FF, 0xBFB8AA3B
.long 0x7E084104
.long 0xBF800000
.long 0x020808F2
.long 0x7E084504
.long 0xBF800000
.long 0x0A0A0AFF, 0xBFB8AA3B
.long 0x7E0A4105
.long 0xBF800000
.long 0x020A0AF2
.long 0x7E0A4505
	;; [unrolled: 6-line block ×8, first 2 shown]
.long 0xBF800000
.long 0xBE801D48
	;; [unrolled: 1-line block ×3, first 2 shown]
.long 0x0A0808FF, 0x4038AA3B
.long 0x7E084104
.long 0xBF800000
.long 0x020808F2
.long 0x7E084504
.long 0xBF800000
.long 0xD1CB0004, 0x03CA08F5
.long 0x0A08083B
.long 0x0A0A0A3A
.long 0x0A0A0AFF, 0x4038AA3B
.long 0x7E0A4105
.long 0xBF800000
.long 0x020A0AF2
.long 0x7E0A4505
.long 0xBF800000
.long 0xD1CB0005, 0x03CA0AF5
.long 0x0A0A0A3B
.long 0x0A0C0C3A
	;; [unrolled: 9-line block ×8, first 2 shown]
.long 0x0A1808FF, 0x3D372713
.long 0xD1CB000C, 0x03CA1904
.long 0x0A181904
.long 0x0A1818FF, 0x40135761
.long 0x7E18410C
.long 0xBF800000
.long 0x021818F2
.long 0x7E18450C
.long 0xBF800000
.long 0xD1CB000C, 0x03D218F5
.long 0x0A181904
.long 0x0A1818F0
.long 0x0A08183A
.long 0x0A180AFF, 0x3D372713
.long 0xD1CB000C, 0x03CA1905
.long 0x0A181905
.long 0x0A1818FF, 0x40135761
.long 0x7E18410C
.long 0xBF800000
.long 0x021818F2
.long 0x7E18450C
.long 0xBF800000
.long 0xD1CB000C, 0x03D218F5
.long 0x0A181905
.long 0x0A1818F0
.long 0x0A0A183A
.long 0x0A180CFF, 0x3D372713
.long 0xD1CB000C, 0x03CA1906
.long 0x0A181906
.long 0x0A1818FF, 0x40135761
.long 0x7E18410C
.long 0xBF800000
.long 0x021818F2
.long 0x7E18450C
.long 0xBF800000
.long 0xD1CB000C, 0x03D218F5
.long 0x0A181906
.long 0x0A1818F0
.long 0x0A0C183A
.long 0x0A180EFF, 0x3D372713
.long 0xD1CB000C, 0x03CA1907
.long 0x0A181907
.long 0x0A1818FF, 0x40135761
.long 0x7E18410C
.long 0xBF800000
.long 0x021818F2
.long 0x7E18450C
.long 0xBF800000
.long 0xD1CB000C, 0x03D218F5
.long 0x0A181907
.long 0x0A1818F0
.long 0x0A0E183A
.long 0x0A1810FF, 0x3D372713
.long 0xD1CB000C, 0x03CA1908
.long 0x0A181908
.long 0x0A1818FF, 0x40135761
.long 0x7E18410C
.long 0xBF800000
.long 0x021818F2
.long 0x7E18450C
.long 0xBF800000
.long 0xD1CB000C, 0x03D218F5
.long 0x0A181908
.long 0x0A1818F0
.long 0x0A10183A
.long 0x0A1812FF, 0x3D372713
.long 0xD1CB000C, 0x03CA1909
.long 0x0A181909
.long 0x0A1818FF, 0x40135761
.long 0x7E18410C
.long 0xBF800000
.long 0x021818F2
.long 0x7E18450C
.long 0xBF800000
.long 0xD1CB000C, 0x03D218F5
.long 0x0A181909
.long 0x0A1818F0
.long 0x0A12183A
.long 0x0A1814FF, 0x3D372713
.long 0xD1CB000C, 0x03CA190A
.long 0x0A18190A
.long 0x0A1818FF, 0x40135761
.long 0x7E18410C
.long 0xBF800000
.long 0x021818F2
.long 0x7E18450C
.long 0xBF800000
.long 0xD1CB000C, 0x03D218F5
.long 0x0A18190A
.long 0x0A1818F0
.long 0x0A14183A
.long 0x0A1816FF, 0x3D372713
.long 0xD1CB000C, 0x03CA190B
.long 0x0A18190B
.long 0x0A1818FF, 0x40135761
.long 0x7E18410C
.long 0xBF800000
.long 0x021818F2
.long 0x7E18450C
.long 0xBF800000
.long 0xD1CB000C, 0x03D218F5
.long 0x0A18190B
.long 0x0A1818F0
.long 0x0A16183A
.long 0xBE801D48
.long 0xBF810000
